;; amdgpu-corpus repo=ROCm/rocFFT kind=compiled arch=gfx1201 opt=O3
	.text
	.amdgcn_target "amdgcn-amd-amdhsa--gfx1201"
	.amdhsa_code_object_version 6
	.protected	fft_rtc_back_len528_factors_4_4_3_11_wgs_48_tpt_48_halfLds_dp_ip_CI_unitstride_sbrr_dirReg ; -- Begin function fft_rtc_back_len528_factors_4_4_3_11_wgs_48_tpt_48_halfLds_dp_ip_CI_unitstride_sbrr_dirReg
	.globl	fft_rtc_back_len528_factors_4_4_3_11_wgs_48_tpt_48_halfLds_dp_ip_CI_unitstride_sbrr_dirReg
	.p2align	8
	.type	fft_rtc_back_len528_factors_4_4_3_11_wgs_48_tpt_48_halfLds_dp_ip_CI_unitstride_sbrr_dirReg,@function
fft_rtc_back_len528_factors_4_4_3_11_wgs_48_tpt_48_halfLds_dp_ip_CI_unitstride_sbrr_dirReg: ; @fft_rtc_back_len528_factors_4_4_3_11_wgs_48_tpt_48_halfLds_dp_ip_CI_unitstride_sbrr_dirReg
; %bb.0:
	s_clause 0x2
	s_load_b128 s[4:7], s[0:1], 0x0
	s_load_b64 s[8:9], s[0:1], 0x50
	s_load_b64 s[10:11], s[0:1], 0x18
	v_mul_u32_u24_e32 v1, 0x556, v0
	v_mov_b32_e32 v3, 0
	s_delay_alu instid0(VALU_DEP_2) | instskip(NEXT) | instid1(VALU_DEP_1)
	v_lshrrev_b32_e32 v1, 16, v1
	v_add_nc_u32_e32 v5, ttmp9, v1
	v_mov_b32_e32 v1, 0
	v_mov_b32_e32 v2, 0
	;; [unrolled: 1-line block ×3, first 2 shown]
	s_wait_kmcnt 0x0
	v_cmp_lt_u64_e64 s2, s[6:7], 2
	s_delay_alu instid0(VALU_DEP_1)
	s_and_b32 vcc_lo, exec_lo, s2
	s_cbranch_vccnz .LBB0_8
; %bb.1:
	s_load_b64 s[2:3], s[0:1], 0x10
	v_mov_b32_e32 v1, 0
	v_mov_b32_e32 v2, 0
	s_add_nc_u64 s[12:13], s[10:11], 8
	s_mov_b64 s[14:15], 1
	s_wait_kmcnt 0x0
	s_add_nc_u64 s[16:17], s[2:3], 8
	s_mov_b32 s3, 0
.LBB0_2:                                ; =>This Inner Loop Header: Depth=1
	s_load_b64 s[18:19], s[16:17], 0x0
                                        ; implicit-def: $vgpr7_vgpr8
	s_mov_b32 s2, exec_lo
	s_wait_kmcnt 0x0
	v_or_b32_e32 v4, s19, v6
	s_delay_alu instid0(VALU_DEP_1)
	v_cmpx_ne_u64_e32 0, v[3:4]
	s_wait_alu 0xfffe
	s_xor_b32 s20, exec_lo, s2
	s_cbranch_execz .LBB0_4
; %bb.3:                                ;   in Loop: Header=BB0_2 Depth=1
	s_cvt_f32_u32 s2, s18
	s_cvt_f32_u32 s21, s19
	s_sub_nc_u64 s[24:25], 0, s[18:19]
	s_wait_alu 0xfffe
	s_delay_alu instid0(SALU_CYCLE_1) | instskip(SKIP_1) | instid1(SALU_CYCLE_2)
	s_fmamk_f32 s2, s21, 0x4f800000, s2
	s_wait_alu 0xfffe
	v_s_rcp_f32 s2, s2
	s_delay_alu instid0(TRANS32_DEP_1) | instskip(SKIP_1) | instid1(SALU_CYCLE_2)
	s_mul_f32 s2, s2, 0x5f7ffffc
	s_wait_alu 0xfffe
	s_mul_f32 s21, s2, 0x2f800000
	s_wait_alu 0xfffe
	s_delay_alu instid0(SALU_CYCLE_2) | instskip(SKIP_1) | instid1(SALU_CYCLE_2)
	s_trunc_f32 s21, s21
	s_wait_alu 0xfffe
	s_fmamk_f32 s2, s21, 0xcf800000, s2
	s_cvt_u32_f32 s23, s21
	s_wait_alu 0xfffe
	s_delay_alu instid0(SALU_CYCLE_1) | instskip(SKIP_1) | instid1(SALU_CYCLE_2)
	s_cvt_u32_f32 s22, s2
	s_wait_alu 0xfffe
	s_mul_u64 s[26:27], s[24:25], s[22:23]
	s_wait_alu 0xfffe
	s_mul_hi_u32 s29, s22, s27
	s_mul_i32 s28, s22, s27
	s_mul_hi_u32 s2, s22, s26
	s_mul_i32 s30, s23, s26
	s_wait_alu 0xfffe
	s_add_nc_u64 s[28:29], s[2:3], s[28:29]
	s_mul_hi_u32 s21, s23, s26
	s_mul_hi_u32 s31, s23, s27
	s_add_co_u32 s2, s28, s30
	s_wait_alu 0xfffe
	s_add_co_ci_u32 s2, s29, s21
	s_mul_i32 s26, s23, s27
	s_add_co_ci_u32 s27, s31, 0
	s_wait_alu 0xfffe
	s_add_nc_u64 s[26:27], s[2:3], s[26:27]
	s_wait_alu 0xfffe
	v_add_co_u32 v4, s2, s22, s26
	s_delay_alu instid0(VALU_DEP_1) | instskip(SKIP_1) | instid1(VALU_DEP_1)
	s_cmp_lg_u32 s2, 0
	s_add_co_ci_u32 s23, s23, s27
	v_readfirstlane_b32 s22, v4
	s_wait_alu 0xfffe
	s_delay_alu instid0(VALU_DEP_1)
	s_mul_u64 s[24:25], s[24:25], s[22:23]
	s_wait_alu 0xfffe
	s_mul_hi_u32 s27, s22, s25
	s_mul_i32 s26, s22, s25
	s_mul_hi_u32 s2, s22, s24
	s_mul_i32 s28, s23, s24
	s_wait_alu 0xfffe
	s_add_nc_u64 s[26:27], s[2:3], s[26:27]
	s_mul_hi_u32 s21, s23, s24
	s_mul_hi_u32 s22, s23, s25
	s_wait_alu 0xfffe
	s_add_co_u32 s2, s26, s28
	s_add_co_ci_u32 s2, s27, s21
	s_mul_i32 s24, s23, s25
	s_add_co_ci_u32 s25, s22, 0
	s_wait_alu 0xfffe
	s_add_nc_u64 s[24:25], s[2:3], s[24:25]
	s_wait_alu 0xfffe
	v_add_co_u32 v4, s2, v4, s24
	s_delay_alu instid0(VALU_DEP_1) | instskip(SKIP_1) | instid1(VALU_DEP_1)
	s_cmp_lg_u32 s2, 0
	s_add_co_ci_u32 s2, s23, s25
	v_mul_hi_u32 v13, v5, v4
	s_wait_alu 0xfffe
	v_mad_co_u64_u32 v[7:8], null, v5, s2, 0
	v_mad_co_u64_u32 v[9:10], null, v6, v4, 0
	;; [unrolled: 1-line block ×3, first 2 shown]
	s_delay_alu instid0(VALU_DEP_3) | instskip(SKIP_1) | instid1(VALU_DEP_4)
	v_add_co_u32 v4, vcc_lo, v13, v7
	s_wait_alu 0xfffd
	v_add_co_ci_u32_e32 v7, vcc_lo, 0, v8, vcc_lo
	s_delay_alu instid0(VALU_DEP_2) | instskip(SKIP_1) | instid1(VALU_DEP_2)
	v_add_co_u32 v4, vcc_lo, v4, v9
	s_wait_alu 0xfffd
	v_add_co_ci_u32_e32 v4, vcc_lo, v7, v10, vcc_lo
	s_wait_alu 0xfffd
	v_add_co_ci_u32_e32 v7, vcc_lo, 0, v12, vcc_lo
	s_delay_alu instid0(VALU_DEP_2) | instskip(SKIP_1) | instid1(VALU_DEP_2)
	v_add_co_u32 v4, vcc_lo, v4, v11
	s_wait_alu 0xfffd
	v_add_co_ci_u32_e32 v9, vcc_lo, 0, v7, vcc_lo
	s_delay_alu instid0(VALU_DEP_2) | instskip(SKIP_1) | instid1(VALU_DEP_3)
	v_mul_lo_u32 v10, s19, v4
	v_mad_co_u64_u32 v[7:8], null, s18, v4, 0
	v_mul_lo_u32 v11, s18, v9
	s_delay_alu instid0(VALU_DEP_2) | instskip(NEXT) | instid1(VALU_DEP_2)
	v_sub_co_u32 v7, vcc_lo, v5, v7
	v_add3_u32 v8, v8, v11, v10
	s_delay_alu instid0(VALU_DEP_1) | instskip(SKIP_1) | instid1(VALU_DEP_1)
	v_sub_nc_u32_e32 v10, v6, v8
	s_wait_alu 0xfffd
	v_subrev_co_ci_u32_e64 v10, s2, s19, v10, vcc_lo
	v_add_co_u32 v11, s2, v4, 2
	s_wait_alu 0xf1ff
	v_add_co_ci_u32_e64 v12, s2, 0, v9, s2
	v_sub_co_u32 v13, s2, v7, s18
	v_sub_co_ci_u32_e32 v8, vcc_lo, v6, v8, vcc_lo
	s_wait_alu 0xf1ff
	v_subrev_co_ci_u32_e64 v10, s2, 0, v10, s2
	s_delay_alu instid0(VALU_DEP_3) | instskip(NEXT) | instid1(VALU_DEP_3)
	v_cmp_le_u32_e32 vcc_lo, s18, v13
	v_cmp_eq_u32_e64 s2, s19, v8
	s_wait_alu 0xfffd
	v_cndmask_b32_e64 v13, 0, -1, vcc_lo
	v_cmp_le_u32_e32 vcc_lo, s19, v10
	s_wait_alu 0xfffd
	v_cndmask_b32_e64 v14, 0, -1, vcc_lo
	v_cmp_le_u32_e32 vcc_lo, s18, v7
	;; [unrolled: 3-line block ×3, first 2 shown]
	s_wait_alu 0xfffd
	v_cndmask_b32_e64 v15, 0, -1, vcc_lo
	v_cmp_eq_u32_e32 vcc_lo, s19, v10
	s_wait_alu 0xf1ff
	s_delay_alu instid0(VALU_DEP_2)
	v_cndmask_b32_e64 v7, v15, v7, s2
	s_wait_alu 0xfffd
	v_cndmask_b32_e32 v10, v14, v13, vcc_lo
	v_add_co_u32 v13, vcc_lo, v4, 1
	s_wait_alu 0xfffd
	v_add_co_ci_u32_e32 v14, vcc_lo, 0, v9, vcc_lo
	s_delay_alu instid0(VALU_DEP_3) | instskip(SKIP_2) | instid1(VALU_DEP_3)
	v_cmp_ne_u32_e32 vcc_lo, 0, v10
	s_wait_alu 0xfffd
	v_cndmask_b32_e32 v10, v13, v11, vcc_lo
	v_cndmask_b32_e32 v8, v14, v12, vcc_lo
	v_cmp_ne_u32_e32 vcc_lo, 0, v7
	s_wait_alu 0xfffd
	s_delay_alu instid0(VALU_DEP_2)
	v_dual_cndmask_b32 v7, v4, v10 :: v_dual_cndmask_b32 v8, v9, v8
.LBB0_4:                                ;   in Loop: Header=BB0_2 Depth=1
	s_wait_alu 0xfffe
	s_and_not1_saveexec_b32 s2, s20
	s_cbranch_execz .LBB0_6
; %bb.5:                                ;   in Loop: Header=BB0_2 Depth=1
	v_cvt_f32_u32_e32 v4, s18
	s_sub_co_i32 s20, 0, s18
	s_delay_alu instid0(VALU_DEP_1) | instskip(NEXT) | instid1(TRANS32_DEP_1)
	v_rcp_iflag_f32_e32 v4, v4
	v_mul_f32_e32 v4, 0x4f7ffffe, v4
	s_delay_alu instid0(VALU_DEP_1) | instskip(SKIP_1) | instid1(VALU_DEP_1)
	v_cvt_u32_f32_e32 v4, v4
	s_wait_alu 0xfffe
	v_mul_lo_u32 v7, s20, v4
	s_delay_alu instid0(VALU_DEP_1) | instskip(NEXT) | instid1(VALU_DEP_1)
	v_mul_hi_u32 v7, v4, v7
	v_add_nc_u32_e32 v4, v4, v7
	s_delay_alu instid0(VALU_DEP_1) | instskip(NEXT) | instid1(VALU_DEP_1)
	v_mul_hi_u32 v4, v5, v4
	v_mul_lo_u32 v7, v4, s18
	v_add_nc_u32_e32 v8, 1, v4
	s_delay_alu instid0(VALU_DEP_2) | instskip(NEXT) | instid1(VALU_DEP_1)
	v_sub_nc_u32_e32 v7, v5, v7
	v_subrev_nc_u32_e32 v9, s18, v7
	v_cmp_le_u32_e32 vcc_lo, s18, v7
	s_wait_alu 0xfffd
	s_delay_alu instid0(VALU_DEP_2) | instskip(NEXT) | instid1(VALU_DEP_1)
	v_dual_cndmask_b32 v7, v7, v9 :: v_dual_cndmask_b32 v4, v4, v8
	v_cmp_le_u32_e32 vcc_lo, s18, v7
	s_delay_alu instid0(VALU_DEP_2) | instskip(SKIP_1) | instid1(VALU_DEP_1)
	v_add_nc_u32_e32 v8, 1, v4
	s_wait_alu 0xfffd
	v_dual_cndmask_b32 v7, v4, v8 :: v_dual_mov_b32 v8, v3
.LBB0_6:                                ;   in Loop: Header=BB0_2 Depth=1
	s_wait_alu 0xfffe
	s_or_b32 exec_lo, exec_lo, s2
	s_load_b64 s[20:21], s[12:13], 0x0
	s_delay_alu instid0(VALU_DEP_1)
	v_mul_lo_u32 v4, v8, s18
	v_mul_lo_u32 v11, v7, s19
	v_mad_co_u64_u32 v[9:10], null, v7, s18, 0
	s_add_nc_u64 s[14:15], s[14:15], 1
	s_add_nc_u64 s[12:13], s[12:13], 8
	s_wait_alu 0xfffe
	v_cmp_ge_u64_e64 s2, s[14:15], s[6:7]
	s_add_nc_u64 s[16:17], s[16:17], 8
	s_delay_alu instid0(VALU_DEP_2) | instskip(NEXT) | instid1(VALU_DEP_3)
	v_add3_u32 v4, v10, v11, v4
	v_sub_co_u32 v5, vcc_lo, v5, v9
	s_wait_alu 0xfffd
	s_delay_alu instid0(VALU_DEP_2) | instskip(SKIP_3) | instid1(VALU_DEP_2)
	v_sub_co_ci_u32_e32 v4, vcc_lo, v6, v4, vcc_lo
	s_and_b32 vcc_lo, exec_lo, s2
	s_wait_kmcnt 0x0
	v_mul_lo_u32 v6, s21, v5
	v_mul_lo_u32 v4, s20, v4
	v_mad_co_u64_u32 v[1:2], null, s20, v5, v[1:2]
	s_delay_alu instid0(VALU_DEP_1)
	v_add3_u32 v2, v6, v2, v4
	s_wait_alu 0xfffe
	s_cbranch_vccnz .LBB0_9
; %bb.7:                                ;   in Loop: Header=BB0_2 Depth=1
	v_dual_mov_b32 v5, v7 :: v_dual_mov_b32 v6, v8
	s_branch .LBB0_2
.LBB0_8:
	v_dual_mov_b32 v8, v6 :: v_dual_mov_b32 v7, v5
.LBB0_9:
	s_lshl_b64 s[2:3], s[6:7], 3
	v_mul_hi_u32 v3, 0x5555556, v0
	s_wait_alu 0xfffe
	s_add_nc_u64 s[2:3], s[10:11], s[2:3]
	v_mov_b32_e32 v60, 0
	s_load_b64 s[2:3], s[2:3], 0x0
	s_load_b64 s[0:1], s[0:1], 0x20
                                        ; implicit-def: $vgpr30_vgpr31
                                        ; implicit-def: $vgpr12_vgpr13
                                        ; implicit-def: $vgpr24_vgpr25
                                        ; implicit-def: $vgpr34_vgpr35
                                        ; implicit-def: $vgpr40_vgpr41
                                        ; implicit-def: $vgpr52_vgpr53
                                        ; implicit-def: $vgpr20_vgpr21
                                        ; implicit-def: $vgpr48_vgpr49
                                        ; implicit-def: $vgpr16_vgpr17
                                        ; implicit-def: $vgpr44_vgpr45
	s_delay_alu instid0(VALU_DEP_2) | instskip(NEXT) | instid1(VALU_DEP_1)
	v_mul_u32_u24_e32 v3, 48, v3
	v_sub_nc_u32_e32 v61, v0, v3
	s_wait_kmcnt 0x0
	v_mul_lo_u32 v4, s2, v8
	v_mul_lo_u32 v5, s3, v7
	v_mad_co_u64_u32 v[1:2], null, s2, v7, v[1:2]
	v_cmp_gt_u64_e32 vcc_lo, s[0:1], v[7:8]
                                        ; implicit-def: $vgpr8_vgpr9
	s_delay_alu instid0(VALU_DEP_2) | instskip(NEXT) | instid1(VALU_DEP_1)
	v_add3_u32 v2, v5, v2, v4
                                        ; implicit-def: $vgpr4_vgpr5
	v_lshlrev_b64_e32 v[58:59], 4, v[1:2]
	s_and_saveexec_b32 s1, vcc_lo
	s_cbranch_execz .LBB0_13
; %bb.10:
	v_mov_b32_e32 v62, 0
	s_delay_alu instid0(VALU_DEP_2) | instskip(SKIP_2) | instid1(VALU_DEP_3)
	v_add_co_u32 v2, s0, s8, v58
	s_wait_alu 0xf1ff
	v_add_co_ci_u32_e64 v3, s0, s9, v59, s0
	v_lshlrev_b64_e32 v[0:1], 4, v[61:62]
	s_mov_b32 s2, exec_lo
                                        ; implicit-def: $vgpr18_vgpr19
                                        ; implicit-def: $vgpr50_vgpr51
                                        ; implicit-def: $vgpr38_vgpr39
                                        ; implicit-def: $vgpr32_vgpr33
	s_delay_alu instid0(VALU_DEP_1) | instskip(SKIP_1) | instid1(VALU_DEP_2)
	v_add_co_u32 v0, s0, v2, v0
	s_wait_alu 0xf1ff
	v_add_co_ci_u32_e64 v1, s0, v3, v1, s0
	s_clause 0x7
	global_load_b128 v[2:5], v[0:1], off
	global_load_b128 v[14:17], v[0:1], off offset:768
	global_load_b128 v[6:9], v[0:1], off offset:2112
	;; [unrolled: 1-line block ×7, first 2 shown]
	v_cmpx_gt_u32_e32 36, v61
; %bb.11:
	s_clause 0x3
	global_load_b128 v[18:21], v[0:1], off offset:1536
	global_load_b128 v[32:35], v[0:1], off offset:3648
	;; [unrolled: 1-line block ×4, first 2 shown]
; %bb.12:
	s_wait_alu 0xfffe
	s_or_b32 exec_lo, exec_lo, s2
	v_mov_b32_e32 v60, v61
.LBB0_13:
	s_wait_alu 0xfffe
	s_or_b32 exec_lo, exec_lo, s1
	s_wait_loadcnt 0x3
	v_add_f64_e64 v[36:37], v[2:3], -v[28:29]
	s_wait_loadcnt 0x1
	v_add_f64_e64 v[54:55], v[6:7], -v[42:43]
	v_add_f64_e64 v[68:69], v[14:15], -v[22:23]
	s_wait_loadcnt 0x0
	v_add_f64_e64 v[22:23], v[10:11], -v[46:47]
	v_add_f64_e64 v[38:39], v[18:19], -v[38:39]
	;; [unrolled: 1-line block ×6, first 2 shown]
	v_add_nc_u32_e32 v70, 48, v61
	v_add_nc_u32_e32 v71, 0x60, v61
	v_cmp_gt_u32_e64 s0, 36, v61
	v_fma_f64 v[46:47], v[2:3], 2.0, -v[36:37]
	v_fma_f64 v[0:1], v[6:7], 2.0, -v[54:55]
	;; [unrolled: 1-line block ×6, first 2 shown]
	v_add_f64_e32 v[28:29], v[66:67], v[36:37]
	v_lshl_add_u32 v18, v61, 5, 0
	v_add_f64_e32 v[44:45], v[64:65], v[68:69]
	v_add_f64_e64 v[26:27], v[46:47], -v[0:1]
	v_add_f64_e64 v[42:43], v[6:7], -v[2:3]
	v_add_f64_e32 v[2:3], v[62:63], v[38:39]
	v_add_f64_e64 v[0:1], v[10:11], -v[14:15]
	v_fma_f64 v[48:49], v[36:37], 2.0, -v[28:29]
	v_lshl_add_u32 v15, v70, 5, 0
	v_fma_f64 v[52:53], v[68:69], 2.0, -v[44:45]
	v_lshl_add_u32 v14, v71, 5, 0
	v_fma_f64 v[46:47], v[46:47], 2.0, -v[26:27]
	v_fma_f64 v[50:51], v[6:7], 2.0, -v[42:43]
	;; [unrolled: 1-line block ×4, first 2 shown]
	ds_store_b128 v18, v[46:49]
	ds_store_b128 v18, v[26:29] offset:16
	ds_store_b128 v15, v[50:53]
	ds_store_b128 v15, v[42:45] offset:16
	s_and_saveexec_b32 s1, s0
	s_cbranch_execz .LBB0_15
; %bb.14:
	ds_store_b128 v14, v[36:39]
	ds_store_b128 v14, v[0:3] offset:16
.LBB0_15:
	s_wait_alu 0xfffe
	s_or_b32 exec_lo, exec_lo, s1
	v_mad_i32_i24 v6, 0xffffffe8, v61, v18
	global_wb scope:SCOPE_SE
	s_wait_dscnt 0x0
	s_barrier_signal -1
	s_barrier_wait -1
	global_inv scope:SCOPE_SE
	v_add_nc_u32_e32 v7, 0x800, v6
	ds_load_2addr_b64 v[42:45], v6 offset1:48
	ds_load_2addr_b64 v[46:49], v6 offset0:132 offset1:180
	ds_load_2addr_b64 v[26:29], v7 offset0:8 offset1:56
	;; [unrolled: 1-line block ×3, first 2 shown]
	v_mul_i32_i24_e32 v6, 0xffffffe8, v61
	s_delay_alu instid0(VALU_DEP_1)
	v_add_nc_u32_e32 v68, v18, v6
	s_and_saveexec_b32 s1, s0
	s_cbranch_execz .LBB0_17
; %bb.16:
	s_delay_alu instid0(VALU_DEP_1)
	v_add_nc_u32_e32 v0, 0x800, v68
	ds_load_2addr_b64 v[36:39], v68 offset0:96 offset1:228
	ds_load_2addr_b64 v[0:3], v0 offset0:104 offset1:236
.LBB0_17:
	s_wait_alu 0xfffe
	s_or_b32 exec_lo, exec_lo, s1
	v_add_f64_e64 v[6:7], v[4:5], -v[30:31]
	v_add_f64_e64 v[24:25], v[16:17], -v[24:25]
	;; [unrolled: 1-line block ×3, first 2 shown]
	v_fma_f64 v[8:9], v[8:9], 2.0, -v[66:67]
	v_fma_f64 v[10:11], v[12:13], 2.0, -v[64:65]
	;; [unrolled: 1-line block ×3, first 2 shown]
	global_wb scope:SCOPE_SE
	s_wait_dscnt 0x0
	s_barrier_signal -1
	s_barrier_wait -1
	global_inv scope:SCOPE_SE
	v_fma_f64 v[4:5], v[4:5], 2.0, -v[6:7]
	v_fma_f64 v[16:17], v[16:17], 2.0, -v[24:25]
	;; [unrolled: 1-line block ×3, first 2 shown]
	v_add_f64_e64 v[32:33], v[6:7], -v[54:55]
	v_add_f64_e64 v[12:13], v[40:41], -v[56:57]
	;; [unrolled: 1-line block ×6, first 2 shown]
	v_fma_f64 v[56:57], v[6:7], 2.0, -v[32:33]
	v_fma_f64 v[8:9], v[40:41], 2.0, -v[12:13]
	;; [unrolled: 1-line block ×6, first 2 shown]
	ds_store_b128 v18, v[54:57]
	ds_store_b128 v18, v[30:33] offset:16
	ds_store_b128 v15, v[62:65]
	ds_store_b128 v15, v[19:22] offset:16
	s_and_saveexec_b32 s1, s0
	s_cbranch_execz .LBB0_19
; %bb.18:
	ds_store_b128 v14, v[6:9]
	ds_store_b128 v14, v[10:13] offset:16
.LBB0_19:
	s_wait_alu 0xfffe
	s_or_b32 exec_lo, exec_lo, s1
	v_add_nc_u32_e32 v4, 0x800, v68
	global_wb scope:SCOPE_SE
	s_wait_dscnt 0x0
	s_barrier_signal -1
	s_barrier_wait -1
	global_inv scope:SCOPE_SE
	ds_load_2addr_b64 v[14:17], v68 offset1:48
	ds_load_2addr_b64 v[18:21], v68 offset0:132 offset1:180
	ds_load_2addr_b64 v[22:25], v4 offset0:8 offset1:56
	;; [unrolled: 1-line block ×3, first 2 shown]
	v_lshlrev_b32_e32 v35, 2, v61
	v_lshlrev_b32_e32 v34, 2, v70
	s_and_saveexec_b32 s1, s0
	s_cbranch_execz .LBB0_21
; %bb.20:
	ds_load_2addr_b64 v[6:9], v68 offset0:96 offset1:228
	ds_load_2addr_b64 v[10:13], v4 offset0:104 offset1:236
.LBB0_21:
	s_wait_alu 0xfffe
	s_or_b32 exec_lo, exec_lo, s1
	v_and_b32_e32 v72, 3, v61
	s_delay_alu instid0(VALU_DEP_1) | instskip(NEXT) | instid1(VALU_DEP_1)
	v_mul_u32_u24_e32 v4, 3, v72
	v_lshlrev_b32_e32 v4, 4, v4
	s_clause 0x2
	global_load_b128 v[62:65], v4, s[4:5]
	global_load_b128 v[30:33], v4, s[4:5] offset:16
	global_load_b128 v[73:76], v4, s[4:5] offset:32
	global_wb scope:SCOPE_SE
	s_wait_loadcnt_dscnt 0x0
	s_barrier_signal -1
	s_barrier_wait -1
	global_inv scope:SCOPE_SE
	v_mul_f64_e32 v[4:5], v[18:19], v[64:65]
	v_mul_f64_e32 v[79:80], v[24:25], v[32:33]
	;; [unrolled: 1-line block ×13, first 2 shown]
	v_fma_f64 v[4:5], v[46:47], v[62:63], v[4:5]
	v_fma_f64 v[46:47], v[50:51], v[73:74], v[66:67]
	v_fma_f64 v[66:67], v[28:29], v[30:31], v[79:80]
	v_mul_f64_e32 v[79:80], v[12:13], v[75:76]
	v_mul_f64_e32 v[75:76], v[2:3], v[75:76]
	v_fma_f64 v[40:41], v[26:27], v[30:31], v[40:41]
	v_fma_f64 v[48:49], v[48:49], v[62:63], v[77:78]
	;; [unrolled: 1-line block ×3, first 2 shown]
	v_fma_f64 v[52:53], v[18:19], v[62:63], -v[83:84]
	v_fma_f64 v[18:19], v[54:55], v[73:74], -v[85:86]
	;; [unrolled: 1-line block ×4, first 2 shown]
	v_fma_f64 v[38:39], v[38:39], v[62:63], v[91:92]
	v_fma_f64 v[8:9], v[8:9], v[62:63], -v[64:65]
	v_fma_f64 v[81:82], v[0:1], v[30:31], v[93:94]
	v_add_f64_e64 v[50:51], v[4:5], -v[46:47]
	v_add_f64_e64 v[83:84], v[44:45], -v[66:67]
	v_fma_f64 v[2:3], v[2:3], v[73:74], v[79:80]
	v_fma_f64 v[46:47], v[12:13], v[73:74], -v[75:76]
	v_add_f64_e64 v[40:41], v[42:43], -v[40:41]
	v_lshlrev_b32_e32 v73, 2, v71
	v_add_f64_e64 v[56:57], v[48:49], -v[77:78]
	v_add_f64_e64 v[64:65], v[52:53], -v[18:19]
	;; [unrolled: 1-line block ×4, first 2 shown]
	v_fma_f64 v[4:5], v[4:5], 2.0, -v[50:51]
	v_fma_f64 v[44:45], v[44:45], 2.0, -v[83:84]
	v_add_f64_e64 v[12:13], v[38:39], -v[2:3]
	v_add_f64_e64 v[66:67], v[8:9], -v[46:47]
	v_fma_f64 v[42:43], v[42:43], 2.0, -v[40:41]
	v_fma_f64 v[48:49], v[48:49], 2.0, -v[56:57]
	v_add_f64_e32 v[76:77], v[40:41], v[64:65]
	v_add_f64_e32 v[78:79], v[83:84], v[62:63]
	v_fma_f64 v[18:19], v[36:37], 2.0, -v[20:21]
	v_fma_f64 v[2:3], v[38:39], 2.0, -v[12:13]
	v_add_f64_e32 v[46:47], v[20:21], v[66:67]
	v_add_f64_e64 v[36:37], v[42:43], -v[4:5]
	v_add_f64_e64 v[48:49], v[44:45], -v[48:49]
	v_fma_f64 v[38:39], v[40:41], 2.0, -v[76:77]
	v_fma_f64 v[40:41], v[83:84], 2.0, -v[78:79]
	v_add_f64_e64 v[4:5], v[18:19], -v[2:3]
	v_fma_f64 v[2:3], v[20:21], 2.0, -v[46:47]
	v_fma_f64 v[42:43], v[42:43], 2.0, -v[36:37]
	v_and_or_b32 v20, 0xf0, v35, v72
	v_fma_f64 v[44:45], v[44:45], 2.0, -v[48:49]
	v_and_or_b32 v21, 0x1f0, v34, v72
	s_delay_alu instid0(VALU_DEP_3) | instskip(NEXT) | instid1(VALU_DEP_2)
	v_lshl_add_u32 v75, v20, 3, 0
	v_lshl_add_u32 v74, v21, 3, 0
	ds_store_2addr_b64 v75, v[36:37], v[76:77] offset0:8 offset1:12
	ds_store_2addr_b64 v75, v[42:43], v[38:39] offset1:4
	ds_store_2addr_b64 v74, v[44:45], v[40:41] offset1:4
	ds_store_2addr_b64 v74, v[48:49], v[78:79] offset0:8 offset1:12
	s_and_saveexec_b32 s1, s0
	s_cbranch_execz .LBB0_23
; %bb.22:
	v_fma_f64 v[18:19], v[18:19], 2.0, -v[4:5]
	v_and_or_b32 v20, 0x3f0, v73, v72
	s_delay_alu instid0(VALU_DEP_1)
	v_lshl_add_u32 v20, v20, 3, 0
	ds_store_2addr_b64 v20, v[18:19], v[2:3] offset1:4
	ds_store_2addr_b64 v20, v[4:5], v[46:47] offset0:8 offset1:12
.LBB0_23:
	s_wait_alu 0xfffe
	s_or_b32 exec_lo, exec_lo, s1
	v_add_nc_u32_e32 v38, 0x800, v68
	v_lshl_add_u32 v69, v61, 3, 0
	global_wb scope:SCOPE_SE
	s_wait_dscnt 0x0
	s_barrier_signal -1
	s_barrier_wait -1
	global_inv scope:SCOPE_SE
	ds_load_2addr_b64 v[18:21], v68 offset1:48
	ds_load_2addr_b64 v[42:45], v68 offset0:176 offset1:224
	ds_load_2addr_b64 v[34:37], v38 offset0:16 offset1:96
	;; [unrolled: 1-line block ×3, first 2 shown]
	ds_load_b64 v[48:49], v69 offset:768
	v_cmp_gt_u32_e64 s1, 32, v61
	s_delay_alu instid0(VALU_DEP_1)
	s_and_saveexec_b32 s2, s1
	s_cbranch_execz .LBB0_25
; %bb.24:
	v_add_nc_u32_e32 v2, 0x400, v69
	ds_load_2addr_b64 v[2:5], v2 offset0:16 offset1:192
	ds_load_b64 v[46:47], v68 offset:3968
.LBB0_25:
	s_wait_alu 0xfffe
	s_or_b32 exec_lo, exec_lo, s2
	v_mul_f64_e32 v[26:27], v[26:27], v[32:33]
	v_mul_f64_e32 v[28:29], v[28:29], v[32:33]
	;; [unrolled: 1-line block ×3, first 2 shown]
	v_fma_f64 v[8:9], v[8:9], 2.0, -v[66:67]
	global_wb scope:SCOPE_SE
	s_wait_dscnt 0x0
	s_barrier_signal -1
	s_barrier_wait -1
	global_inv scope:SCOPE_SE
	v_fma_f64 v[22:23], v[22:23], v[30:31], -v[26:27]
	v_fma_f64 v[24:25], v[24:25], v[30:31], -v[28:29]
	;; [unrolled: 1-line block ×3, first 2 shown]
	v_fma_f64 v[10:11], v[52:53], 2.0, -v[64:65]
	v_fma_f64 v[26:27], v[54:55], 2.0, -v[62:63]
	v_add_f64_e64 v[22:23], v[14:15], -v[22:23]
	v_add_f64_e64 v[24:25], v[16:17], -v[24:25]
	;; [unrolled: 1-line block ×3, first 2 shown]
	s_delay_alu instid0(VALU_DEP_3) | instskip(NEXT) | instid1(VALU_DEP_3)
	v_fma_f64 v[14:15], v[14:15], 2.0, -v[22:23]
	v_fma_f64 v[16:17], v[16:17], 2.0, -v[24:25]
	s_delay_alu instid0(VALU_DEP_3)
	v_fma_f64 v[0:1], v[6:7], 2.0, -v[28:29]
	v_add_f64_e64 v[30:31], v[28:29], -v[12:13]
	v_add_f64_e64 v[32:33], v[22:23], -v[50:51]
	;; [unrolled: 1-line block ×6, first 2 shown]
	v_fma_f64 v[6:7], v[28:29], 2.0, -v[30:31]
	v_fma_f64 v[12:13], v[22:23], 2.0, -v[32:33]
	;; [unrolled: 1-line block ×5, first 2 shown]
	ds_store_2addr_b64 v75, v[10:11], v[32:33] offset0:8 offset1:12
	ds_store_2addr_b64 v75, v[14:15], v[12:13] offset1:4
	ds_store_2addr_b64 v74, v[16:17], v[22:23] offset1:4
	ds_store_2addr_b64 v74, v[26:27], v[50:51] offset0:8 offset1:12
	s_and_saveexec_b32 s2, s0
	s_cbranch_execz .LBB0_27
; %bb.26:
	v_fma_f64 v[0:1], v[0:1], 2.0, -v[8:9]
	v_and_or_b32 v10, 0x3f0, v73, v72
	s_delay_alu instid0(VALU_DEP_1)
	v_lshl_add_u32 v10, v10, 3, 0
	ds_store_2addr_b64 v10, v[0:1], v[6:7] offset1:4
	ds_store_2addr_b64 v10, v[8:9], v[30:31] offset0:8 offset1:12
.LBB0_27:
	s_wait_alu 0xfffe
	s_or_b32 exec_lo, exec_lo, s2
	v_add_nc_u32_e32 v0, 0x800, v68
	global_wb scope:SCOPE_SE
	s_wait_dscnt 0x0
	s_barrier_signal -1
	s_barrier_wait -1
	global_inv scope:SCOPE_SE
	ds_load_2addr_b64 v[10:13], v68 offset1:48
	ds_load_2addr_b64 v[26:29], v68 offset0:176 offset1:224
	ds_load_2addr_b64 v[22:25], v0 offset0:16 offset1:96
	;; [unrolled: 1-line block ×3, first 2 shown]
	ds_load_b64 v[0:1], v69 offset:768
	s_and_saveexec_b32 s0, s1
	s_cbranch_execz .LBB0_29
; %bb.28:
	v_add_nc_u32_e32 v6, 0x400, v69
	ds_load_2addr_b64 v[6:9], v6 offset0:16 offset1:192
	ds_load_b64 v[30:31], v68 offset:3968
.LBB0_29:
	s_wait_alu 0xfffe
	s_or_b32 exec_lo, exec_lo, s0
	v_and_b32_e32 v52, 15, v61
	s_mov_b32 s2, 0xe8584caa
	s_mov_b32 s3, 0xbfebb67a
	;; [unrolled: 1-line block ×3, first 2 shown]
	s_wait_alu 0xfffe
	s_mov_b32 s6, s2
	v_lshlrev_b32_e32 v32, 5, v52
	s_clause 0x1
	global_load_b128 v[53:56], v32, s[4:5] offset:192
	global_load_b128 v[62:65], v32, s[4:5] offset:208
	global_wb scope:SCOPE_SE
	s_wait_loadcnt_dscnt 0x0
	s_barrier_signal -1
	s_barrier_wait -1
	global_inv scope:SCOPE_SE
	v_mul_f64_e32 v[32:33], v[26:27], v[55:56]
	v_mul_f64_e32 v[50:51], v[24:25], v[64:65]
	;; [unrolled: 1-line block ×12, first 2 shown]
	v_fma_f64 v[42:43], v[42:43], v[53:54], v[32:33]
	v_fma_f64 v[50:51], v[36:37], v[62:63], v[50:51]
	;; [unrolled: 1-line block ×6, first 2 shown]
	v_fma_f64 v[26:27], v[26:27], v[53:54], -v[78:79]
	v_fma_f64 v[24:25], v[24:25], v[62:63], -v[80:81]
	;; [unrolled: 1-line block ×6, first 2 shown]
	v_mul_f64_e32 v[72:73], v[8:9], v[55:56]
	v_mul_f64_e32 v[55:56], v[4:5], v[55:56]
	;; [unrolled: 1-line block ×4, first 2 shown]
	v_add_f64_e32 v[76:77], v[18:19], v[42:43]
	v_add_f64_e32 v[40:41], v[42:43], v[50:51]
	;; [unrolled: 1-line block ×6, first 2 shown]
	v_add_f64_e64 v[78:79], v[26:27], -v[24:25]
	v_add_f64_e64 v[84:85], v[28:29], -v[14:15]
	v_fma_f64 v[30:31], v[30:31], v[62:63], -v[64:65]
	v_fma_f64 v[18:19], v[40:41], -0.5, v[18:19]
	v_fma_f64 v[40:41], v[4:5], v[53:54], v[72:73]
	v_fma_f64 v[20:21], v[44:45], -0.5, v[20:21]
	v_add_f64_e64 v[44:45], v[22:23], -v[16:17]
	v_fma_f64 v[48:49], v[66:67], -0.5, v[48:49]
	v_fma_f64 v[4:5], v[8:9], v[53:54], -v[55:56]
	v_fma_f64 v[8:9], v[46:47], v[62:63], v[74:75]
	v_add_f64_e32 v[53:54], v[76:77], v[50:51]
	v_add_f64_e32 v[55:56], v[80:81], v[38:39]
	;; [unrolled: 1-line block ×3, first 2 shown]
	v_lshrrev_b32_e32 v46, 4, v71
	v_add_nc_u32_e32 v47, 0x90, v61
	s_delay_alu instid0(VALU_DEP_2) | instskip(NEXT) | instid1(VALU_DEP_1)
	v_mul_u32_u24_e32 v46, 48, v46
	v_or_b32_e32 v62, v46, v52
	v_fma_f64 v[72:73], v[78:79], s[2:3], v[18:19]
	s_wait_alu 0xfffe
	v_fma_f64 v[18:19], v[78:79], s[6:7], v[18:19]
	v_fma_f64 v[74:75], v[84:85], s[2:3], v[20:21]
	;; [unrolled: 1-line block ×5, first 2 shown]
	v_lshrrev_b32_e32 v44, 4, v61
	v_lshrrev_b32_e32 v45, 4, v70
	s_delay_alu instid0(VALU_DEP_2) | instskip(NEXT) | instid1(VALU_DEP_2)
	v_mul_u32_u24_e32 v57, 48, v44
	v_mul_u32_u24_e32 v45, 48, v45
	v_lshrrev_b32_e32 v44, 4, v47
	s_delay_alu instid0(VALU_DEP_3) | instskip(NEXT) | instid1(VALU_DEP_3)
	v_or_b32_e32 v47, v57, v52
	v_or_b32_e32 v57, v45, v52
	s_delay_alu instid0(VALU_DEP_2) | instskip(NEXT) | instid1(VALU_DEP_2)
	v_lshl_add_u32 v45, v47, 3, 0
	v_lshl_add_u32 v46, v57, 3, 0
	;; [unrolled: 1-line block ×3, first 2 shown]
	ds_store_2addr_b64 v45, v[53:54], v[72:73] offset1:16
	ds_store_b64 v45, v[18:19] offset:256
	ds_store_2addr_b64 v46, v[55:56], v[74:75] offset1:16
	ds_store_b64 v46, v[20:21] offset:256
	;; [unrolled: 2-line block ×3, first 2 shown]
	s_and_saveexec_b32 s0, s1
	s_cbranch_execz .LBB0_31
; %bb.30:
	v_add_f64_e32 v[18:19], v[40:41], v[8:9]
	v_add_f64_e64 v[20:21], v[4:5], -v[30:31]
	v_add_f64_e32 v[48:49], v[2:3], v[40:41]
	s_delay_alu instid0(VALU_DEP_3) | instskip(NEXT) | instid1(VALU_DEP_2)
	v_fma_f64 v[2:3], v[18:19], -0.5, v[2:3]
	v_add_f64_e32 v[18:19], v[48:49], v[8:9]
	s_delay_alu instid0(VALU_DEP_2) | instskip(SKIP_2) | instid1(VALU_DEP_1)
	v_fma_f64 v[48:49], v[20:21], s[2:3], v[2:3]
	v_fma_f64 v[2:3], v[20:21], s[6:7], v[2:3]
	v_mul_u32_u24_e32 v20, 48, v44
	v_or_b32_e32 v20, v20, v52
	s_delay_alu instid0(VALU_DEP_1)
	v_lshl_add_u32 v20, v20, 3, 0
	ds_store_2addr_b64 v20, v[18:19], v[48:49] offset1:16
	ds_store_b64 v20, v[2:3] offset:256
.LBB0_31:
	s_wait_alu 0xfffe
	s_or_b32 exec_lo, exec_lo, s0
	v_add_f64_e32 v[2:3], v[26:27], v[24:25]
	v_add_f64_e32 v[18:19], v[28:29], v[14:15]
	;; [unrolled: 1-line block ×4, first 2 shown]
	v_add_f64_e64 v[42:43], v[42:43], -v[50:51]
	v_add_f64_e32 v[28:29], v[12:13], v[28:29]
	v_add_f64_e32 v[22:23], v[0:1], v[22:23]
	global_wb scope:SCOPE_SE
	s_wait_dscnt 0x0
	s_barrier_signal -1
	s_barrier_wait -1
	global_inv scope:SCOPE_SE
	v_fma_f64 v[2:3], v[2:3], -0.5, v[10:11]
	v_add_f64_e64 v[10:11], v[36:37], -v[38:39]
	v_fma_f64 v[12:13], v[18:19], -0.5, v[12:13]
	v_add_f64_e64 v[18:19], v[32:33], -v[34:35]
	v_fma_f64 v[0:1], v[20:21], -0.5, v[0:1]
	v_add_f64_e32 v[32:33], v[26:27], v[24:25]
	v_add_f64_e32 v[28:29], v[28:29], v[14:15]
	;; [unrolled: 1-line block ×3, first 2 shown]
	v_fma_f64 v[36:37], v[42:43], s[6:7], v[2:3]
	v_fma_f64 v[38:39], v[42:43], s[2:3], v[2:3]
	;; [unrolled: 1-line block ×6, first 2 shown]
	v_add_nc_u32_e32 v10, 0x800, v68
	ds_load_2addr_b64 v[0:3], v68 offset1:48
	ds_load_2addr_b64 v[14:17], v69 offset0:96 offset1:144
	ds_load_2addr_b64 v[22:25], v68 offset0:192 offset1:240
	ds_load_b64 v[26:27], v68 offset:3840
	ds_load_2addr_b64 v[18:21], v10 offset0:32 offset1:80
	ds_load_2addr_b64 v[10:13], v10 offset0:128 offset1:176
	global_wb scope:SCOPE_SE
	s_wait_dscnt 0x0
	s_barrier_signal -1
	s_barrier_wait -1
	global_inv scope:SCOPE_SE
	ds_store_2addr_b64 v45, v[32:33], v[36:37] offset1:16
	ds_store_b64 v45, v[38:39] offset:256
	ds_store_2addr_b64 v46, v[28:29], v[42:43] offset1:16
	ds_store_b64 v46, v[48:49] offset:256
	;; [unrolled: 2-line block ×3, first 2 shown]
	s_and_saveexec_b32 s0, s1
	s_cbranch_execz .LBB0_33
; %bb.32:
	v_add_f64_e32 v[28:29], v[4:5], v[30:31]
	v_add_f64_e64 v[8:9], v[40:41], -v[8:9]
	v_add_f64_e32 v[4:5], v[6:7], v[4:5]
	s_mov_b32 s3, 0x3febb67a
	s_mov_b32 s2, 0xe8584caa
	s_delay_alu instid0(VALU_DEP_3) | instskip(NEXT) | instid1(VALU_DEP_2)
	v_fma_f64 v[28:29], v[28:29], -0.5, v[6:7]
	v_add_f64_e32 v[4:5], v[4:5], v[30:31]
	s_wait_alu 0xfffe
	s_delay_alu instid0(VALU_DEP_2) | instskip(SKIP_4) | instid1(VALU_DEP_1)
	v_fma_f64 v[6:7], v[8:9], s[2:3], v[28:29]
	s_mov_b32 s3, 0xbfebb67a
	s_wait_alu 0xfffe
	v_fma_f64 v[8:9], v[8:9], s[2:3], v[28:29]
	v_mul_u32_u24_e32 v28, 48, v44
	v_or_b32_e32 v28, v28, v52
	s_delay_alu instid0(VALU_DEP_1)
	v_lshl_add_u32 v28, v28, 3, 0
	ds_store_2addr_b64 v28, v[4:5], v[6:7] offset1:16
	ds_store_b64 v28, v[8:9] offset:256
.LBB0_33:
	s_wait_alu 0xfffe
	s_or_b32 exec_lo, exec_lo, s0
	global_wb scope:SCOPE_SE
	s_wait_dscnt 0x0
	s_barrier_signal -1
	s_barrier_wait -1
	global_inv scope:SCOPE_SE
	s_and_saveexec_b32 s0, vcc_lo
	s_cbranch_execz .LBB0_35
; %bb.34:
	v_mul_u32_u24_e32 v4, 10, v61
	v_add_nc_u32_e32 v78, 0x800, v68
	s_mov_b32 s10, 0xbb3a28a1
	s_mov_b32 s11, 0xbfe82f19
	;; [unrolled: 1-line block ×3, first 2 shown]
	v_lshlrev_b32_e32 v4, 4, v4
	s_mov_b32 s21, 0x3fed1bb4
	s_mov_b32 s20, 0x8eee2c13
	;; [unrolled: 1-line block ×4, first 2 shown]
	s_clause 0x9
	global_load_b128 v[28:31], v4, s[4:5] offset:704
	global_load_b128 v[38:41], v4, s[4:5] offset:768
	;; [unrolled: 1-line block ×10, first 2 shown]
	s_mov_b32 s4, 0xfd768dbf
	s_mov_b32 s5, 0xbfd207e7
	;; [unrolled: 1-line block ×5, first 2 shown]
	s_wait_alu 0xfffe
	s_mov_b32 s22, s2
	s_mov_b32 s24, s6
	s_mov_b32 s14, 0x7f775887
	s_mov_b32 s12, 0x9bcd5057
	s_mov_b32 s15, 0xbfe4f49e
	s_mov_b32 s13, 0xbfeeb42a
	s_mov_b32 s27, 0x3fd207e7
	s_mov_b32 s26, s4
	s_mov_b32 s0, 0x640f44db
	s_mov_b32 s1, 0xbfc2375f
	s_mov_b32 s18, 0xd9c712b6
	s_mov_b32 s16, 0x8764f0ba
	s_mov_b32 s19, 0x3fda9628
	s_mov_b32 s17, 0x3feaeb8c
	s_wait_loadcnt 0x9
	v_mul_f64_e32 v[32:33], v[2:3], v[30:31]
	v_mul_f64_e32 v[36:37], v[2:3], v[28:29]
	ds_load_2addr_b64 v[2:5], v68 offset1:48
	s_wait_loadcnt 0x8
	v_mul_f64_e32 v[82:83], v[24:25], v[38:39]
	v_mul_f64_e32 v[24:25], v[24:25], v[40:41]
	s_wait_loadcnt 0x7
	v_mul_f64_e32 v[84:85], v[22:23], v[42:43]
	s_wait_loadcnt 0x6
	v_mul_f64_e32 v[88:89], v[18:19], v[46:47]
	v_mul_f64_e32 v[18:19], v[18:19], v[48:49]
	s_wait_loadcnt 0x1
	v_mul_f64_e32 v[100:101], v[14:15], v[76:77]
	v_mul_f64_e32 v[106:107], v[14:15], v[74:75]
	;; [unrolled: 1-line block ×10, first 2 shown]
	s_wait_loadcnt 0x0
	v_mul_f64_e32 v[110:111], v[12:13], v[6:7]
	v_mul_f64_e32 v[112:113], v[12:13], v[8:9]
	s_wait_dscnt 0x0
	v_fma_f64 v[34:35], v[4:5], v[28:29], -v[32:33]
	v_fma_f64 v[36:37], v[4:5], v[30:31], v[36:37]
	v_mul_f64_e32 v[32:33], v[16:17], v[63:64]
	ds_load_2addr_b64 v[14:17], v68 offset0:192 offset1:240
	ds_load_2addr_b64 v[28:31], v78 offset0:32 offset1:80
	ds_load_b64 v[108:109], v68 offset:3840
	ds_load_2addr_b64 v[65:68], v69 offset0:96 offset1:144
	ds_load_2addr_b64 v[78:81], v78 offset0:128 offset1:176
	s_wait_dscnt 0x4
	v_fma_f64 v[20:21], v[16:17], v[40:41], v[82:83]
	v_fma_f64 v[22:23], v[16:17], v[38:39], -v[24:25]
	v_fma_f64 v[24:25], v[14:15], v[44:45], v[84:85]
	s_wait_dscnt 0x1
	v_fma_f64 v[38:39], v[65:66], v[74:75], -v[100:101]
	v_fma_f64 v[18:19], v[28:29], v[46:47], -v[18:19]
	v_fma_f64 v[44:45], v[65:66], v[76:77], v[106:107]
	v_fma_f64 v[16:17], v[28:29], v[48:49], v[88:89]
	;; [unrolled: 1-line block ×3, first 2 shown]
	v_fma_f64 v[28:29], v[108:109], v[54:55], -v[104:105]
	v_fma_f64 v[26:27], v[14:15], v[42:43], -v[86:87]
	v_fma_f64 v[12:13], v[30:31], v[52:53], v[90:91]
	v_fma_f64 v[14:15], v[30:31], v[50:51], -v[94:95]
	v_fma_f64 v[30:31], v[67:68], v[63:64], v[96:97]
	s_wait_dscnt 0x0
	v_fma_f64 v[10:11], v[78:79], v[72:73], v[98:99]
	v_fma_f64 v[8:9], v[80:81], v[8:9], v[110:111]
	v_fma_f64 v[6:7], v[80:81], v[6:7], -v[112:113]
	v_add_f64_e32 v[40:41], v[2:3], v[34:35]
	v_add_f64_e32 v[46:47], v[0:1], v[36:37]
	v_fma_f64 v[42:43], v[67:68], v[61:62], -v[32:33]
	v_fma_f64 v[32:33], v[78:79], v[70:71], -v[102:103]
	v_add_f64_e64 v[56:57], v[22:23], -v[18:19]
	v_add_f64_e32 v[71:72], v[22:23], v[18:19]
	v_add_f64_e64 v[54:55], v[20:21], -v[16:17]
	v_add_f64_e64 v[50:51], v[36:37], -v[4:5]
	;; [unrolled: 1-line block ×3, first 2 shown]
	v_add_f64_e32 v[34:35], v[34:35], v[28:29]
	v_add_f64_e64 v[48:49], v[24:25], -v[12:13]
	v_add_f64_e64 v[52:53], v[26:27], -v[14:15]
	v_add_f64_e32 v[36:37], v[36:37], v[4:5]
	v_add_f64_e64 v[61:62], v[30:31], -v[10:11]
	v_add_f64_e32 v[79:80], v[30:31], v[10:11]
	v_add_f64_e64 v[67:68], v[44:45], -v[8:9]
	v_add_f64_e64 v[69:70], v[38:39], -v[6:7]
	v_add_f64_e32 v[73:74], v[26:27], v[14:15]
	v_add_f64_e32 v[81:82], v[24:25], v[12:13]
	;; [unrolled: 1-line block ×5, first 2 shown]
	v_add_f64_e64 v[63:64], v[42:43], -v[32:33]
	v_add_f64_e32 v[75:76], v[42:43], v[32:33]
	v_add_f64_e32 v[44:45], v[44:45], v[8:9]
	;; [unrolled: 1-line block ×3, first 2 shown]
	v_mul_f64_e32 v[93:94], s[20:21], v[56:57]
	v_mul_f64_e32 v[89:90], s[20:21], v[54:55]
	;; [unrolled: 1-line block ×9, first 2 shown]
	s_wait_alu 0xfffe
	v_mul_f64_e32 v[97:98], s[22:23], v[50:51]
	v_mul_f64_e32 v[105:106], s[22:23], v[65:66]
	;; [unrolled: 1-line block ×5, first 2 shown]
	v_add_f64_e32 v[40:41], v[42:43], v[40:41]
	v_add_f64_e32 v[30:31], v[30:31], v[46:47]
	v_mul_f64_e32 v[46:47], s[10:11], v[65:66]
	v_mul_f64_e32 v[42:43], s[20:21], v[61:62]
	v_mul_f64_e32 v[99:100], s[20:21], v[63:64]
	s_mov_b32 s21, 0xbfed1bb4
	v_mul_f64_e32 v[119:120], s[2:3], v[67:68]
	s_wait_alu 0xfffe
	v_mul_f64_e32 v[50:51], s[20:21], v[50:51]
	v_mul_f64_e32 v[121:122], s[24:25], v[67:68]
	;; [unrolled: 1-line block ×21, first 2 shown]
	v_fma_f64 v[157:158], v[36:37], s[12:13], -v[101:102]
	v_fma_f64 v[101:102], v[36:37], s[12:13], v[101:102]
	v_mul_f64_e32 v[109:110], s[10:11], v[54:55]
	v_fma_f64 v[153:154], v[34:35], s[0:1], v[95:96]
	v_fma_f64 v[95:96], v[34:35], s[0:1], -v[95:96]
	v_fma_f64 v[161:162], v[36:37], s[0:1], -v[103:104]
	v_fma_f64 v[103:104], v[36:37], s[0:1], v[103:104]
	v_fma_f64 v[155:156], v[34:35], s[16:17], v[97:98]
	v_fma_f64 v[97:98], v[34:35], s[16:17], -v[97:98]
	v_fma_f64 v[163:164], v[36:37], s[16:17], -v[105:106]
	v_add_f64_e32 v[26:27], v[26:27], v[40:41]
	v_mul_f64_e32 v[40:41], s[10:11], v[52:53]
	v_mul_f64_e32 v[52:53], s[20:21], v[65:66]
	v_add_f64_e32 v[24:25], v[24:25], v[30:31]
	v_mul_f64_e32 v[65:66], s[20:21], v[67:68]
	v_mul_f64_e32 v[67:68], s[20:21], v[69:70]
	v_fma_f64 v[69:70], v[34:35], s[12:13], v[85:86]
	v_fma_f64 v[30:31], v[34:35], s[12:13], -v[85:86]
	v_fma_f64 v[85:86], v[34:35], s[14:15], v[91:92]
	v_fma_f64 v[91:92], v[34:35], s[14:15], -v[91:92]
	v_fma_f64 v[159:160], v[36:37], s[14:15], -v[46:47]
	v_fma_f64 v[46:47], v[36:37], s[14:15], v[46:47]
	v_fma_f64 v[105:106], v[36:37], s[16:17], v[105:106]
	v_fma_f64 v[167:168], v[34:35], s[18:19], v[50:51]
	v_fma_f64 v[34:35], v[34:35], s[18:19], -v[50:51]
	v_fma_f64 v[175:176], v[38:39], s[0:1], v[121:122]
	v_fma_f64 v[121:122], v[38:39], s[0:1], -v[121:122]
	v_fma_f64 v[177:178], v[38:39], s[14:15], v[125:126]
	v_fma_f64 v[165:166], v[75:76], s[14:15], v[113:114]
	v_fma_f64 v[113:114], v[75:76], s[14:15], -v[113:114]
	v_fma_f64 v[50:51], v[75:76], s[16:17], v[115:116]
	v_fma_f64 v[115:116], v[75:76], s[16:17], -v[115:116]
	;; [unrolled: 2-line block ×5, first 2 shown]
	v_add_f64_e32 v[157:158], v[0:1], v[157:158]
	v_fma_f64 v[75:76], v[38:39], s[16:17], v[119:120]
	v_fma_f64 v[119:120], v[38:39], s[16:17], -v[119:120]
	v_add_f64_e32 v[101:102], v[0:1], v[101:102]
	v_fma_f64 v[181:182], v[44:45], s[12:13], -v[131:132]
	v_fma_f64 v[131:132], v[44:45], s[12:13], v[131:132]
	v_add_f64_e32 v[95:96], v[2:3], v[95:96]
	v_add_f64_e32 v[103:104], v[0:1], v[103:104]
	;; [unrolled: 1-line block ×5, first 2 shown]
	v_fma_f64 v[26:27], v[38:39], s[12:13], v[123:124]
	v_fma_f64 v[179:180], v[36:37], s[18:19], v[52:53]
	v_fma_f64 v[36:37], v[36:37], s[18:19], -v[52:53]
	v_add_f64_e32 v[20:21], v[20:21], v[24:25]
	v_fma_f64 v[24:25], v[38:39], s[14:15], -v[125:126]
	v_fma_f64 v[52:53], v[44:45], s[16:17], -v[127:128]
	v_fma_f64 v[125:126], v[44:45], s[16:17], v[127:128]
	v_fma_f64 v[127:128], v[44:45], s[0:1], -v[129:130]
	v_fma_f64 v[129:130], v[44:45], s[0:1], v[129:130]
	v_add_f64_e32 v[91:92], v[2:3], v[91:92]
	v_add_f64_e32 v[46:47], v[0:1], v[46:47]
	;; [unrolled: 1-line block ×6, first 2 shown]
	v_fma_f64 v[123:124], v[38:39], s[12:13], -v[123:124]
	v_add_f64_e32 v[97:98], v[2:3], v[97:98]
	v_add_f64_e32 v[167:168], v[2:3], v[167:168]
	;; [unrolled: 1-line block ×3, first 2 shown]
	v_fma_f64 v[34:35], v[44:45], s[14:15], -v[133:134]
	v_fma_f64 v[133:134], v[44:45], s[14:15], v[133:134]
	v_fma_f64 v[183:184], v[38:39], s[18:19], v[65:66]
	v_fma_f64 v[38:39], v[38:39], s[18:19], -v[65:66]
	v_fma_f64 v[65:66], v[44:45], s[18:19], -v[67:68]
	v_fma_f64 v[44:45], v[44:45], s[18:19], v[67:68]
	v_add_f64_e32 v[105:106], v[0:1], v[105:106]
	v_add_f64_e32 v[161:162], v[0:1], v[161:162]
	v_fma_f64 v[67:68], v[79:80], s[14:15], -v[135:136]
	v_fma_f64 v[135:136], v[79:80], s[14:15], v[135:136]
	v_fma_f64 v[185:186], v[79:80], s[0:1], -v[63:64]
	v_fma_f64 v[63:64], v[79:80], s[0:1], v[63:64]
	v_mul_f64_e32 v[141:142], s[2:3], v[54:55]
	v_mul_f64_e32 v[54:55], s[4:5], v[54:55]
	v_add_f64_e32 v[103:104], v[131:132], v[103:104]
	v_fma_f64 v[131:132], v[81:82], s[12:13], v[147:148]
	v_add_f64_e32 v[18:19], v[18:19], v[22:23]
	v_fma_f64 v[22:23], v[79:80], s[16:17], -v[137:138]
	v_add_f64_e32 v[179:180], v[0:1], v[179:180]
	v_add_f64_e32 v[36:37], v[0:1], v[36:37]
	;; [unrolled: 1-line block ×4, first 2 shown]
	v_fma_f64 v[137:138], v[79:80], s[16:17], v[137:138]
	v_add_f64_e32 v[52:53], v[52:53], v[157:158]
	v_add_f64_e32 v[101:102], v[125:126], v[101:102]
	v_fma_f64 v[20:21], v[79:80], s[18:19], -v[99:100]
	v_add_f64_e32 v[91:92], v[121:122], v[91:92]
	v_add_f64_e32 v[46:47], v[129:130], v[46:47]
	;; [unrolled: 1-line block ×6, first 2 shown]
	v_fma_f64 v[99:100], v[79:80], s[18:19], v[99:100]
	v_add_f64_e32 v[95:96], v[123:124], v[95:96]
	v_fma_f64 v[163:164], v[79:80], s[12:13], -v[139:140]
	v_fma_f64 v[139:140], v[79:80], s[12:13], v[139:140]
	v_add_f64_e32 v[2:3], v[24:25], v[2:3]
	v_add_f64_e32 v[26:27], v[26:27], v[153:154]
	v_add_f64_e32 v[123:124], v[183:184], v[155:156]
	v_add_f64_e32 v[38:39], v[38:39], v[97:98]
	v_add_f64_e32 v[97:98], v[177:178], v[167:168]
	v_mul_f64_e32 v[79:80], s[6:7], v[56:57]
	v_add_f64_e32 v[44:45], v[44:45], v[105:106]
	v_add_f64_e32 v[121:122], v[181:182], v[161:162]
	v_fma_f64 v[175:176], v[73:74], s[18:19], v[83:84]
	v_fma_f64 v[83:84], v[73:74], s[18:19], -v[83:84]
	v_fma_f64 v[159:160], v[73:74], s[12:13], v[111:112]
	v_fma_f64 v[111:112], v[73:74], s[12:13], -v[111:112]
	;; [unrolled: 2-line block ×3, first 2 shown]
	v_fma_f64 v[129:130], v[81:82], s[12:13], -v[147:148]
	v_fma_f64 v[147:148], v[81:82], s[0:1], v[151:152]
	v_mul_f64_e32 v[75:76], s[10:11], v[56:57]
	v_mul_f64_e32 v[157:158], s[2:3], v[56:57]
	v_add_f64_e32 v[14:15], v[14:15], v[18:19]
	v_fma_f64 v[18:19], v[73:74], s[16:17], -v[143:144]
	v_add_f64_e32 v[24:25], v[133:134], v[179:180]
	v_add_f64_e32 v[34:35], v[34:35], v[36:37]
	;; [unrolled: 1-line block ×4, first 2 shown]
	v_fma_f64 v[16:17], v[73:74], s[16:17], v[143:144]
	v_fma_f64 v[36:37], v[73:74], s[0:1], v[145:146]
	v_fma_f64 v[65:66], v[73:74], s[0:1], -v[145:146]
	v_fma_f64 v[73:74], v[81:82], s[18:19], -v[87:88]
	v_fma_f64 v[87:88], v[81:82], s[18:19], v[87:88]
	v_fma_f64 v[133:134], v[81:82], s[16:17], -v[149:150]
	v_fma_f64 v[143:144], v[81:82], s[16:17], v[149:150]
	v_fma_f64 v[145:146], v[81:82], s[0:1], -v[151:152]
	v_fma_f64 v[149:150], v[81:82], s[14:15], -v[40:41]
	v_fma_f64 v[40:41], v[81:82], s[14:15], v[40:41]
	v_add_f64_e32 v[52:53], v[67:68], v[52:53]
	v_add_f64_e32 v[81:82], v[115:116], v[91:92]
	;; [unrolled: 1-line block ×13, first 2 shown]
	v_mul_f64_e32 v[56:57], s[4:5], v[56:57]
	v_add_f64_e32 v[26:27], v[169:170], v[26:27]
	v_add_f64_e32 v[20:21], v[20:21], v[121:122]
	;; [unrolled: 1-line block ×4, first 2 shown]
	v_fma_f64 v[119:120], v[71:72], s[0:1], v[107:108]
	v_fma_f64 v[107:108], v[71:72], s[0:1], -v[107:108]
	v_fma_f64 v[125:126], v[71:72], s[18:19], v[89:90]
	v_fma_f64 v[89:90], v[71:72], s[18:19], -v[89:90]
	v_add_f64_e32 v[14:15], v[32:33], v[14:15]
	v_fma_f64 v[32:33], v[71:72], s[14:15], v[109:110]
	v_add_f64_e32 v[24:25], v[139:140], v[24:25]
	v_add_f64_e32 v[34:35], v[163:164], v[34:35]
	;; [unrolled: 1-line block ×4, first 2 shown]
	v_fma_f64 v[63:64], v[71:72], s[14:15], -v[109:110]
	v_fma_f64 v[95:96], v[71:72], s[16:17], v[141:142]
	v_fma_f64 v[97:98], v[71:72], s[16:17], -v[141:142]
	v_fma_f64 v[99:100], v[71:72], s[12:13], v[54:55]
	v_fma_f64 v[54:55], v[71:72], s[12:13], -v[54:55]
	v_fma_f64 v[12:13], v[77:78], s[0:1], -v[79:80]
	v_fma_f64 v[71:72], v[77:78], s[0:1], v[79:80]
	v_fma_f64 v[79:80], v[77:78], s[18:19], -v[93:94]
	v_fma_f64 v[93:94], v[77:78], s[18:19], v[93:94]
	v_fma_f64 v[101:102], v[77:78], s[14:15], -v[75:76]
	v_add_f64_e32 v[52:53], v[73:74], v[52:53]
	v_add_f64_e32 v[73:74], v[111:112], v[81:82]
	;; [unrolled: 1-line block ×8, first 2 shown]
	v_fma_f64 v[75:76], v[77:78], s[14:15], v[75:76]
	v_add_f64_e32 v[42:43], v[18:19], v[42:43]
	v_add_f64_e32 v[81:82], v[143:144], v[85:86]
	v_fma_f64 v[109:110], v[77:78], s[16:17], v[157:158]
	v_add_f64_e32 v[38:39], v[48:49], v[38:39]
	v_add_f64_e32 v[40:41], v[40:41], v[44:45]
	;; [unrolled: 1-line block ×3, first 2 shown]
	v_fma_f64 v[103:104], v[77:78], s[16:17], -v[157:158]
	v_fma_f64 v[113:114], v[77:78], s[12:13], -v[56:57]
	v_fma_f64 v[56:57], v[77:78], s[12:13], v[56:57]
	v_add_f64_e32 v[26:27], v[16:17], v[26:27]
	v_add_f64_e32 v[77:78], v[133:134], v[20:21]
	;; [unrolled: 1-line block ×25, first 2 shown]
	v_mov_b32_e32 v61, 0
	v_add_f64_e32 v[46:47], v[28:29], v[85:86]
	v_add_f64_e32 v[36:37], v[109:110], v[48:49]
	;; [unrolled: 1-line block ×6, first 2 shown]
	v_lshlrev_b64_e32 v[4:5], 4, v[60:61]
	v_add_co_u32 v26, vcc_lo, s8, v58
	s_wait_alu 0xfffd
	v_add_co_ci_u32_e32 v27, vcc_lo, s9, v59, vcc_lo
	s_delay_alu instid0(VALU_DEP_2) | instskip(SKIP_1) | instid1(VALU_DEP_2)
	v_add_co_u32 v4, vcc_lo, v26, v4
	s_wait_alu 0xfffd
	v_add_co_ci_u32_e32 v5, vcc_lo, v27, v5, vcc_lo
	s_clause 0xa
	global_store_b128 v[4:5], v[14:17], off offset:3072
	global_store_b128 v[4:5], v[6:9], off offset:3840
	;; [unrolled: 1-line block ×9, first 2 shown]
	global_store_b128 v[4:5], v[44:47], off
	global_store_b128 v[4:5], v[28:31], off offset:7680
.LBB0_35:
	s_nop 0
	s_sendmsg sendmsg(MSG_DEALLOC_VGPRS)
	s_endpgm
	.section	.rodata,"a",@progbits
	.p2align	6, 0x0
	.amdhsa_kernel fft_rtc_back_len528_factors_4_4_3_11_wgs_48_tpt_48_halfLds_dp_ip_CI_unitstride_sbrr_dirReg
		.amdhsa_group_segment_fixed_size 0
		.amdhsa_private_segment_fixed_size 0
		.amdhsa_kernarg_size 88
		.amdhsa_user_sgpr_count 2
		.amdhsa_user_sgpr_dispatch_ptr 0
		.amdhsa_user_sgpr_queue_ptr 0
		.amdhsa_user_sgpr_kernarg_segment_ptr 1
		.amdhsa_user_sgpr_dispatch_id 0
		.amdhsa_user_sgpr_private_segment_size 0
		.amdhsa_wavefront_size32 1
		.amdhsa_uses_dynamic_stack 0
		.amdhsa_enable_private_segment 0
		.amdhsa_system_sgpr_workgroup_id_x 1
		.amdhsa_system_sgpr_workgroup_id_y 0
		.amdhsa_system_sgpr_workgroup_id_z 0
		.amdhsa_system_sgpr_workgroup_info 0
		.amdhsa_system_vgpr_workitem_id 0
		.amdhsa_next_free_vgpr 187
		.amdhsa_next_free_sgpr 32
		.amdhsa_reserve_vcc 1
		.amdhsa_float_round_mode_32 0
		.amdhsa_float_round_mode_16_64 0
		.amdhsa_float_denorm_mode_32 3
		.amdhsa_float_denorm_mode_16_64 3
		.amdhsa_fp16_overflow 0
		.amdhsa_workgroup_processor_mode 1
		.amdhsa_memory_ordered 1
		.amdhsa_forward_progress 0
		.amdhsa_round_robin_scheduling 0
		.amdhsa_exception_fp_ieee_invalid_op 0
		.amdhsa_exception_fp_denorm_src 0
		.amdhsa_exception_fp_ieee_div_zero 0
		.amdhsa_exception_fp_ieee_overflow 0
		.amdhsa_exception_fp_ieee_underflow 0
		.amdhsa_exception_fp_ieee_inexact 0
		.amdhsa_exception_int_div_zero 0
	.end_amdhsa_kernel
	.text
.Lfunc_end0:
	.size	fft_rtc_back_len528_factors_4_4_3_11_wgs_48_tpt_48_halfLds_dp_ip_CI_unitstride_sbrr_dirReg, .Lfunc_end0-fft_rtc_back_len528_factors_4_4_3_11_wgs_48_tpt_48_halfLds_dp_ip_CI_unitstride_sbrr_dirReg
                                        ; -- End function
	.section	.AMDGPU.csdata,"",@progbits
; Kernel info:
; codeLenInByte = 7224
; NumSgprs: 34
; NumVgprs: 187
; ScratchSize: 0
; MemoryBound: 1
; FloatMode: 240
; IeeeMode: 1
; LDSByteSize: 0 bytes/workgroup (compile time only)
; SGPRBlocks: 4
; VGPRBlocks: 23
; NumSGPRsForWavesPerEU: 34
; NumVGPRsForWavesPerEU: 187
; Occupancy: 8
; WaveLimiterHint : 1
; COMPUTE_PGM_RSRC2:SCRATCH_EN: 0
; COMPUTE_PGM_RSRC2:USER_SGPR: 2
; COMPUTE_PGM_RSRC2:TRAP_HANDLER: 0
; COMPUTE_PGM_RSRC2:TGID_X_EN: 1
; COMPUTE_PGM_RSRC2:TGID_Y_EN: 0
; COMPUTE_PGM_RSRC2:TGID_Z_EN: 0
; COMPUTE_PGM_RSRC2:TIDIG_COMP_CNT: 0
	.text
	.p2alignl 7, 3214868480
	.fill 96, 4, 3214868480
	.type	__hip_cuid_ceabd62891a0de8e,@object ; @__hip_cuid_ceabd62891a0de8e
	.section	.bss,"aw",@nobits
	.globl	__hip_cuid_ceabd62891a0de8e
__hip_cuid_ceabd62891a0de8e:
	.byte	0                               ; 0x0
	.size	__hip_cuid_ceabd62891a0de8e, 1

	.ident	"AMD clang version 19.0.0git (https://github.com/RadeonOpenCompute/llvm-project roc-6.4.0 25133 c7fe45cf4b819c5991fe208aaa96edf142730f1d)"
	.section	".note.GNU-stack","",@progbits
	.addrsig
	.addrsig_sym __hip_cuid_ceabd62891a0de8e
	.amdgpu_metadata
---
amdhsa.kernels:
  - .args:
      - .actual_access:  read_only
        .address_space:  global
        .offset:         0
        .size:           8
        .value_kind:     global_buffer
      - .offset:         8
        .size:           8
        .value_kind:     by_value
      - .actual_access:  read_only
        .address_space:  global
        .offset:         16
        .size:           8
        .value_kind:     global_buffer
      - .actual_access:  read_only
        .address_space:  global
        .offset:         24
        .size:           8
        .value_kind:     global_buffer
      - .offset:         32
        .size:           8
        .value_kind:     by_value
      - .actual_access:  read_only
        .address_space:  global
        .offset:         40
        .size:           8
        .value_kind:     global_buffer
      - .actual_access:  read_only
        .address_space:  global
        .offset:         48
        .size:           8
        .value_kind:     global_buffer
      - .offset:         56
        .size:           4
        .value_kind:     by_value
      - .actual_access:  read_only
        .address_space:  global
        .offset:         64
        .size:           8
        .value_kind:     global_buffer
      - .actual_access:  read_only
        .address_space:  global
        .offset:         72
        .size:           8
        .value_kind:     global_buffer
      - .address_space:  global
        .offset:         80
        .size:           8
        .value_kind:     global_buffer
    .group_segment_fixed_size: 0
    .kernarg_segment_align: 8
    .kernarg_segment_size: 88
    .language:       OpenCL C
    .language_version:
      - 2
      - 0
    .max_flat_workgroup_size: 48
    .name:           fft_rtc_back_len528_factors_4_4_3_11_wgs_48_tpt_48_halfLds_dp_ip_CI_unitstride_sbrr_dirReg
    .private_segment_fixed_size: 0
    .sgpr_count:     34
    .sgpr_spill_count: 0
    .symbol:         fft_rtc_back_len528_factors_4_4_3_11_wgs_48_tpt_48_halfLds_dp_ip_CI_unitstride_sbrr_dirReg.kd
    .uniform_work_group_size: 1
    .uses_dynamic_stack: false
    .vgpr_count:     187
    .vgpr_spill_count: 0
    .wavefront_size: 32
    .workgroup_processor_mode: 1
amdhsa.target:   amdgcn-amd-amdhsa--gfx1201
amdhsa.version:
  - 1
  - 2
...

	.end_amdgpu_metadata
